;; amdgpu-corpus repo=ROCm/rocFFT kind=compiled arch=gfx1030 opt=O3
	.text
	.amdgcn_target "amdgcn-amd-amdhsa--gfx1030"
	.amdhsa_code_object_version 6
	.protected	fft_rtc_back_len81_factors_3_9_3_wgs_189_tpt_9_dim2_dp_op_CI_CI_sbcc_twdbase8_2step ; -- Begin function fft_rtc_back_len81_factors_3_9_3_wgs_189_tpt_9_dim2_dp_op_CI_CI_sbcc_twdbase8_2step
	.globl	fft_rtc_back_len81_factors_3_9_3_wgs_189_tpt_9_dim2_dp_op_CI_CI_sbcc_twdbase8_2step
	.p2align	8
	.type	fft_rtc_back_len81_factors_3_9_3_wgs_189_tpt_9_dim2_dp_op_CI_CI_sbcc_twdbase8_2step,@function
fft_rtc_back_len81_factors_3_9_3_wgs_189_tpt_9_dim2_dp_op_CI_CI_sbcc_twdbase8_2step: ; @fft_rtc_back_len81_factors_3_9_3_wgs_189_tpt_9_dim2_dp_op_CI_CI_sbcc_twdbase8_2step
; %bb.0:
	s_clause 0x1
	s_load_dwordx2 s[0:1], s[4:5], 0x10
	s_load_dwordx2 s[12:13], s[4:5], 0x20
	s_waitcnt lgkmcnt(0)
	s_load_dwordx2 s[0:1], s[0:1], 0x8
	s_waitcnt lgkmcnt(0)
	s_add_u32 s2, s0, -1
	s_addc_u32 s3, s1, -1
	s_add_u32 s7, 0, 0x30c26c00
	s_addc_u32 s8, 0, 44
	s_mul_hi_u32 s10, s7, 0xffffffeb
	s_add_i32 s8, s8, 0xc30c2e0
	s_sub_i32 s10, s10, s7
	s_mul_i32 s14, s8, 0xffffffeb
	s_mul_i32 s9, s7, 0xffffffeb
	s_add_i32 s10, s10, s14
	s_mul_hi_u32 s11, s7, s9
	s_mul_i32 s16, s7, s10
	s_mul_hi_u32 s14, s7, s10
	s_mul_hi_u32 s15, s8, s9
	s_mul_i32 s9, s8, s9
	s_add_u32 s11, s11, s16
	s_addc_u32 s14, 0, s14
	s_mul_hi_u32 s17, s8, s10
	s_add_u32 s9, s11, s9
	s_mul_i32 s10, s8, s10
	s_addc_u32 s9, s14, s15
	s_addc_u32 s11, s17, 0
	s_add_u32 s9, s9, s10
	v_add_co_u32 v1, s7, s7, s9
	s_addc_u32 s9, 0, s11
	s_cmp_lg_u32 s7, 0
	s_addc_u32 s7, s8, s9
	v_readfirstlane_b32 s8, v1
	s_mul_i32 s10, s2, s7
	s_mul_hi_u32 s9, s2, s7
	s_mul_hi_u32 s11, s3, s7
	s_mul_i32 s7, s3, s7
	s_mul_hi_u32 s14, s2, s8
	s_mul_hi_u32 s15, s3, s8
	s_mul_i32 s8, s3, s8
	s_add_u32 s10, s14, s10
	s_addc_u32 s9, 0, s9
	s_add_u32 s8, s10, s8
	s_addc_u32 s8, s9, s15
	s_addc_u32 s9, s11, 0
	s_add_u32 s8, s8, s7
	s_addc_u32 s9, 0, s9
	s_mul_i32 s10, s8, 21
	s_add_u32 s7, s8, 1
	v_sub_co_u32 v1, s2, s2, s10
	s_mul_hi_u32 s10, s8, 21
	s_addc_u32 s11, s9, 0
	s_mul_i32 s14, s9, 21
	v_sub_co_u32 v2, s15, v1, 21
	s_add_u32 s16, s8, 2
	s_addc_u32 s17, s9, 0
	s_add_i32 s10, s10, s14
	s_cmp_lg_u32 s2, 0
	v_readfirstlane_b32 s2, v2
	s_subb_u32 s3, s3, s10
	s_cmp_lg_u32 s15, 0
	s_subb_u32 s10, s3, 0
	s_cmp_gt_u32 s2, 20
	s_cselect_b32 s2, -1, 0
	s_cmp_eq_u32 s10, 0
	v_readfirstlane_b32 s10, v1
	s_cselect_b32 s2, s2, -1
	s_cmp_lg_u32 s2, 0
	s_cselect_b32 s2, s16, s7
	s_cselect_b32 s14, s17, s11
	s_cmp_gt_u32 s10, 20
	s_load_dwordx2 s[10:11], s[4:5], 0x0
	s_cselect_b32 s7, -1, 0
	s_cmp_eq_u32 s3, 0
	s_cselect_b32 s3, s7, -1
	s_mov_b32 s7, 0
	s_cmp_lg_u32 s3, 0
	s_cselect_b32 s2, s2, s8
	s_cselect_b32 s3, s14, s9
	s_add_u32 s2, s2, 1
	s_addc_u32 s3, s3, 0
	s_mov_b64 s[8:9], 0
	v_cmp_lt_u64_e64 s7, s[6:7], s[2:3]
	s_and_b32 vcc_lo, exec_lo, s7
	s_cbranch_vccnz .LBB0_2
; %bb.1:
	v_cvt_f32_u32_e32 v1, s2
	s_sub_i32 s8, 0, s2
	v_rcp_iflag_f32_e32 v1, v1
	v_mul_f32_e32 v1, 0x4f7ffffe, v1
	v_cvt_u32_f32_e32 v1, v1
	v_readfirstlane_b32 s7, v1
	s_mul_i32 s8, s8, s7
	s_mul_hi_u32 s8, s7, s8
	s_add_i32 s7, s7, s8
	s_mul_hi_u32 s7, s6, s7
	s_mul_i32 s8, s7, s2
	s_add_i32 s9, s7, 1
	s_sub_i32 s8, s6, s8
	s_sub_i32 s14, s8, s2
	s_cmp_ge_u32 s8, s2
	s_cselect_b32 s7, s9, s7
	s_cselect_b32 s8, s14, s8
	s_add_i32 s9, s7, 1
	s_cmp_ge_u32 s8, s2
	s_cselect_b32 s8, s9, s7
.LBB0_2:
	v_mul_u32_u24_e32 v1, 0xc31, v0
	s_mul_i32 s3, s8, s3
	s_mul_hi_u32 s7, s8, s2
	s_mul_i32 s2, s8, s2
	s_add_i32 s7, s7, s3
	v_lshrrev_b32_e32 v32, 16, v1
	s_sub_u32 s2, s6, s2
	s_subb_u32 s3, 0, s7
	s_mul_hi_u32 s6, s2, 21
	s_mul_i32 s3, s3, 21
	v_mul_lo_u16 v1, v32, 21
	s_mul_i32 s9, s2, 21
	s_add_i32 s18, s6, s3
	s_add_u32 s2, s9, 21
	s_addc_u32 s3, s18, 0
	v_sub_nc_u16 v1, v0, v1
	v_cmp_le_u64_e64 s2, s[2:3], s[0:1]
	v_lshlrev_b32_e32 v34, 4, v32
	v_add_nc_u32_e32 v31, 9, v32
	v_add_nc_u32_e32 v30, 18, v32
	v_and_b32_e32 v33, 0xffff, v1
	v_add_nc_u32_e32 v29, 27, v32
	v_add_nc_u32_e32 v28, 36, v32
	;; [unrolled: 1-line block ×4, first 2 shown]
	v_add_co_u32 v1, s6, s9, v33
	v_add_co_ci_u32_e64 v2, null, s18, 0, s6
	v_mul_u32_u24_e32 v35, 0x510, v33
	v_add_nc_u32_e32 v26, 63, v32
	v_add_nc_u32_e32 v24, 0x48, v32
	v_cmp_gt_u64_e32 vcc_lo, s[0:1], v[1:2]
	s_or_b32 s19, s2, vcc_lo
	s_and_saveexec_b32 s20, s19
	s_cbranch_execz .LBB0_4
; %bb.3:
	s_load_dwordx2 s[0:1], s[4:5], 0x18
	s_waitcnt lgkmcnt(0)
	s_clause 0x1
	s_load_dwordx2 s[14:15], s[0:1], 0x10
	s_load_dwordx4 s[0:3], s[0:1], 0x0
	s_load_dwordx2 s[6:7], s[4:5], 0x58
	s_waitcnt lgkmcnt(0)
	s_mul_i32 s15, s15, s8
	v_mad_u64_u32 v[1:2], null, s2, v33, 0
	v_mad_u64_u32 v[3:4], null, s0, v32, 0
	;; [unrolled: 1-line block ×8, first 2 shown]
	s_mul_hi_u32 s17, s14, s8
	v_mad_u64_u32 v[14:15], null, s1, v31, v[6:7]
	v_mov_b32_e32 v2, v12
	s_mul_i32 s21, s9, s3
	s_mul_hi_u32 s22, s9, s2
	v_mov_b32_e32 v11, v18
	s_mul_i32 s14, s14, s8
	s_add_i32 s15, s17, s15
	s_mul_i32 s23, s18, s2
	s_mul_i32 s16, s9, s2
	s_add_i32 s2, s22, s21
	v_mad_u64_u32 v[15:16], null, s1, v30, v[8:9]
	s_lshl_b64 s[14:15], s[14:15], 4
	s_add_i32 s17, s2, s23
	v_mov_b32_e32 v4, v13
	v_lshlrev_b64 v[1:2], 4, v[1:2]
	s_add_u32 s2, s6, s14
	v_mad_u64_u32 v[36:37], null, s1, v29, v[10:11]
	s_addc_u32 s14, s7, s15
	s_lshl_b64 s[6:7], s[16:17], 4
	v_mov_b32_e32 v6, v14
	s_add_u32 s2, s2, s6
	v_lshlrev_b64 v[3:4], 4, v[3:4]
	s_addc_u32 s6, s14, s7
	v_mov_b32_e32 v8, v15
	v_add_co_u32 v43, vcc_lo, s2, v1
	v_lshlrev_b64 v[5:6], 4, v[5:6]
	v_add_co_ci_u32_e32 v46, vcc_lo, s6, v2, vcc_lo
	v_mov_b32_e32 v10, v36
	v_lshlrev_b64 v[7:8], 4, v[7:8]
	v_add_co_u32 v1, vcc_lo, v43, v3
	v_add_co_ci_u32_e32 v2, vcc_lo, v46, v4, vcc_lo
	v_mad_u64_u32 v[19:20], null, s0, v27, 0
	v_mad_u64_u32 v[21:22], null, s0, v25, 0
	v_lshlrev_b64 v[9:10], 4, v[9:10]
	v_add_co_u32 v5, vcc_lo, v43, v5
	v_mad_u64_u32 v[11:12], null, s1, v28, v[11:12]
	v_add_co_ci_u32_e32 v6, vcc_lo, v46, v6, vcc_lo
	v_add_co_u32 v12, vcc_lo, v43, v7
	v_add_co_ci_u32_e32 v13, vcc_lo, v46, v8, vcc_lo
	v_add_co_u32 v14, vcc_lo, v43, v9
	v_add_co_ci_u32_e32 v15, vcc_lo, v46, v10, vcc_lo
	v_mov_b32_e32 v9, v20
	v_mov_b32_e32 v10, v22
	v_mad_u64_u32 v[36:37], null, s0, v26, 0
	v_mov_b32_e32 v18, v11
	s_clause 0x1
	global_load_dwordx4 v[1:4], v[1:2], off
	global_load_dwordx4 v[5:8], v[5:6], off
	v_mad_u64_u32 v[22:23], null, s1, v27, v[9:10]
	v_mad_u64_u32 v[38:39], null, s1, v25, v[10:11]
	v_mad_u64_u32 v[39:40], null, s0, v24, 0
	v_mov_b32_e32 v23, v37
	v_lshlrev_b64 v[17:18], 4, v[17:18]
	v_mov_b32_e32 v20, v22
	s_clause 0x1
	global_load_dwordx4 v[9:12], v[12:13], off
	global_load_dwordx4 v[13:16], v[14:15], off
	v_mov_b32_e32 v22, v38
	v_mad_u64_u32 v[37:38], null, s1, v26, v[23:24]
	v_mov_b32_e32 v23, v40
	v_lshlrev_b64 v[19:20], 4, v[19:20]
	v_add_co_u32 v17, vcc_lo, v43, v17
	v_add_co_ci_u32_e32 v18, vcc_lo, v46, v18, vcc_lo
	v_mad_u64_u32 v[40:41], null, s1, v24, v[23:24]
	v_lshlrev_b64 v[21:22], 4, v[21:22]
	v_add_co_u32 v41, vcc_lo, v43, v19
	v_add_co_ci_u32_e32 v42, vcc_lo, v46, v20, vcc_lo
	v_lshlrev_b64 v[19:20], 4, v[36:37]
	v_add_co_u32 v21, vcc_lo, v43, v21
	v_lshlrev_b64 v[36:37], 4, v[39:40]
	v_add_co_ci_u32_e32 v22, vcc_lo, v46, v22, vcc_lo
	v_add_co_u32 v44, vcc_lo, v43, v19
	v_add_co_ci_u32_e32 v45, vcc_lo, v46, v20, vcc_lo
	v_add_co_u32 v48, vcc_lo, v43, v36
	v_add_co_ci_u32_e32 v49, vcc_lo, v46, v37, vcc_lo
	s_clause 0x4
	global_load_dwordx4 v[17:20], v[17:18], off
	global_load_dwordx4 v[36:39], v[41:42], off
	;; [unrolled: 1-line block ×5, first 2 shown]
	v_add3_u32 v21, 0, v35, v34
	s_waitcnt vmcnt(8)
	ds_write_b128 v21, v[1:4]
	s_waitcnt vmcnt(7)
	ds_write_b128 v21, v[5:8] offset:144
	s_waitcnt vmcnt(6)
	ds_write_b128 v21, v[9:12] offset:288
	;; [unrolled: 2-line block ×8, first 2 shown]
.LBB0_4:
	s_or_b32 exec_lo, exec_lo, s20
	s_add_u32 s0, 0, 0x30c26c00
	s_addc_u32 s1, 0, 44
	s_mul_hi_u32 s3, s0, 0xffffffeb
	s_add_i32 s1, s1, 0xc30c2e0
	v_mov_b32_e32 v1, 0x1c72
	s_sub_i32 s3, s3, s0
	s_mul_i32 s7, s1, 0xffffffeb
	s_mul_i32 s2, s0, 0xffffffeb
	s_add_i32 s3, s3, s7
	s_mul_hi_u32 s6, s1, s2
	s_mul_i32 s7, s1, s2
	s_mul_i32 s14, s0, s3
	s_mul_hi_u32 s2, s0, s2
	v_mul_u32_u24_sdwa v1, v0, v1 dst_sel:DWORD dst_unused:UNUSED_PAD src0_sel:WORD_0 src1_sel:DWORD
	s_mul_hi_u32 s15, s0, s3
	s_add_u32 s2, s2, s14
	s_addc_u32 s14, 0, s15
	s_mul_hi_u32 s15, s1, s3
	s_add_u32 s2, s2, s7
	s_addc_u32 s2, s14, s6
	s_mul_i32 s3, s1, s3
	v_lshrrev_b32_e32 v5, 16, v1
	s_addc_u32 s6, s15, 0
	s_add_u32 s2, s2, s3
	s_mov_b32 s14, 0xe8584caa
	v_add_co_u32 v3, s0, s0, s2
	s_addc_u32 s2, 0, s6
	s_cmp_lg_u32 s0, 0
	v_add_co_u32 v37, s0, s9, v5
	s_addc_u32 s1, s1, s2
	v_add_co_ci_u32_e64 v6, null, s18, 0, s0
	v_mad_u64_u32 v[1:2], null, v37, s1, 0
	v_mul_hi_u32 v7, v37, v3
	v_mad_u64_u32 v[3:4], null, v6, v3, 0
	v_mul_lo_u16 v5, v5, 9
	s_mov_b32 s15, 0xbfebb67a
	s_mov_b32 s16, 0xa2cf5039
	;; [unrolled: 1-line block ×4, first 2 shown]
	v_add_co_u32 v7, vcc_lo, v7, v1
	v_add_co_ci_u32_e32 v8, vcc_lo, 0, v2, vcc_lo
	v_mad_u64_u32 v[1:2], null, v6, s1, 0
	v_add_co_u32 v3, vcc_lo, v7, v3
	v_add_co_ci_u32_e32 v3, vcc_lo, v8, v4, vcc_lo
	v_sub_nc_u16 v82, v0, v5
	s_clause 0x1
	s_load_dwordx2 s[6:7], s[12:13], 0x0
	s_load_dwordx4 s[0:3], s[12:13], 0x8
	v_add_co_ci_u32_e32 v2, vcc_lo, 0, v2, vcc_lo
	v_add_co_u32 v1, vcc_lo, v3, v1
	v_and_b32_e32 v38, 0xffff, v82
	v_add_co_ci_u32_e32 v3, vcc_lo, 0, v2, vcc_lo
	v_mad_u64_u32 v[1:2], null, v1, 21, 0
	s_waitcnt lgkmcnt(0)
	s_barrier
	buffer_gl0_inv
	s_mov_b32 s13, 0x3febb67a
	s_mov_b32 s12, s14
	;; [unrolled: 1-line block ×3, first 2 shown]
	v_mad_u64_u32 v[2:3], null, v3, 21, v[2:3]
	v_sub_co_u32 v1, vcc_lo, v37, v1
	s_mov_b32 s20, 0x523c161c
	s_mov_b32 s23, 0x3fef838b
	s_mov_b32 s24, 0xe8584cab
	s_mov_b32 s25, s13
	v_sub_co_ci_u32_e32 v2, vcc_lo, v6, v2, vcc_lo
	v_sub_co_u32 v3, vcc_lo, v1, 21
	v_subrev_co_ci_u32_e32 v4, vcc_lo, 0, v2, vcc_lo
	v_cmp_lt_u32_e32 vcc_lo, 20, v3
	v_cndmask_b32_e64 v6, 0, -1, vcc_lo
	v_cmp_lt_u32_e32 vcc_lo, 20, v1
	v_cndmask_b32_e64 v7, 0, -1, vcc_lo
	v_cmp_eq_u32_e32 vcc_lo, 0, v4
	v_cndmask_b32_e32 v4, -1, v6, vcc_lo
	v_cmp_eq_u32_e32 vcc_lo, 0, v2
	v_subrev_nc_u32_e32 v6, 21, v3
	v_cndmask_b32_e32 v2, -1, v7, vcc_lo
	v_cmp_ne_u32_e32 vcc_lo, 0, v4
	v_cndmask_b32_e32 v3, v3, v6, vcc_lo
	v_cmp_ne_u32_e32 vcc_lo, 0, v2
	v_cndmask_b32_e32 v0, v1, v3, vcc_lo
	v_lshlrev_b32_e32 v1, 4, v38
	v_mul_u32_u24_e32 v0, 0x51, v0
	v_lshlrev_b32_e32 v0, 4, v0
	v_add3_u32 v36, 0, v1, v0
	ds_read_b128 v[3:6], v36 offset:432
	ds_read_b128 v[7:10], v36 offset:864
	;; [unrolled: 1-line block ×6, first 2 shown]
	v_add3_u32 v39, 0, v0, v1
	ds_read_b128 v[44:47], v39
	ds_read_b128 v[48:51], v36 offset:144
	ds_read_b128 v[52:55], v36 offset:288
	v_and_b32_e32 v1, 0xff, v82
	s_waitcnt lgkmcnt(0)
	s_barrier
	buffer_gl0_inv
	v_mul_lo_u16 v1, 0xab, v1
	v_add_f64 v[56:57], v[3:4], v[7:8]
	v_add_f64 v[58:59], v[5:6], v[9:10]
	;; [unrolled: 1-line block ×6, first 2 shown]
	v_add_f64 v[70:71], v[5:6], -v[9:10]
	v_lshrrev_b16 v2, 9, v1
	v_add_f64 v[68:69], v[44:45], v[3:4]
	v_add_f64 v[72:73], v[46:47], v[5:6]
	;; [unrolled: 1-line block ×6, first 2 shown]
	v_lshlrev_b32_e32 v1, 5, v38
	v_fma_f64 v[44:45], v[56:57], -0.5, v[44:45]
	v_add_f64 v[56:57], v[3:4], -v[7:8]
	v_fma_f64 v[46:47], v[58:59], -0.5, v[46:47]
	v_add_f64 v[58:59], v[17:18], -v[13:14]
	;; [unrolled: 2-line block ×5, first 2 shown]
	v_fma_f64 v[54:55], v[66:67], -0.5, v[54:55]
	v_add_f64 v[4:5], v[68:69], v[7:8]
	v_add_f64 v[6:7], v[72:73], v[9:10]
	;; [unrolled: 1-line block ×6, first 2 shown]
	v_mul_lo_u16 v3, v2, 3
	v_and_b32_e32 v2, 0xffff, v2
	v_fma_f64 v[16:17], v[70:71], s[14:15], v[44:45]
	v_fma_f64 v[20:21], v[70:71], s[12:13], v[44:45]
	;; [unrolled: 1-line block ×12, first 2 shown]
	v_mov_b32_e32 v56, 7
	v_sub_nc_u16 v3, v82, v3
	v_add_nc_u32_e32 v57, v36, v1
	ds_write_b128 v57, v[4:7]
	ds_write_b128 v57, v[8:11] offset:432
	ds_write_b128 v57, v[12:15] offset:864
	;; [unrolled: 1-line block ×6, first 2 shown]
	ds_write2_b64 v57, v[48:49], v[52:53] offset0:110 offset1:111
	ds_write2_b64 v57, v[50:51], v[54:55] offset0:112 offset1:113
	v_lshlrev_b32_sdwa v56, v56, v3 dst_sel:DWORD dst_unused:UNUSED_PAD src0_sel:DWORD src1_sel:BYTE_0
	s_waitcnt lgkmcnt(0)
	s_barrier
	buffer_gl0_inv
	s_clause 0x7
	global_load_dwordx4 v[4:7], v56, s[10:11]
	global_load_dwordx4 v[8:11], v56, s[10:11] offset:16
	global_load_dwordx4 v[12:15], v56, s[10:11] offset:96
	global_load_dwordx4 v[16:19], v56, s[10:11] offset:112
	global_load_dwordx4 v[20:23], v56, s[10:11] offset:48
	global_load_dwordx4 v[40:43], v56, s[10:11] offset:64
	global_load_dwordx4 v[44:47], v56, s[10:11] offset:32
	global_load_dwordx4 v[48:51], v56, s[10:11] offset:80
	ds_read_b128 v[52:55], v36 offset:144
	ds_read_b128 v[56:59], v36 offset:288
	;; [unrolled: 1-line block ×6, first 2 shown]
	ds_read_b128 v[76:79], v39
	ds_read_b128 v[80:83], v36 offset:432
	ds_read_b128 v[84:87], v36 offset:864
	v_mad_u32_u24 v2, 0x1b0, v2, 0
	s_waitcnt vmcnt(0) lgkmcnt(0)
	s_barrier
	buffer_gl0_inv
	v_mul_f64 v[88:89], v[54:55], v[6:7]
	v_mul_f64 v[6:7], v[52:53], v[6:7]
	;; [unrolled: 1-line block ×10, first 2 shown]
	v_fma_f64 v[52:53], v[52:53], v[4:5], v[88:89]
	v_fma_f64 v[4:5], v[54:55], v[4:5], -v[6:7]
	v_mul_f64 v[6:7], v[68:69], v[22:23]
	v_mul_f64 v[22:23], v[72:73], v[42:43]
	v_fma_f64 v[42:43], v[56:57], v[8:9], v[90:91]
	v_fma_f64 v[54:55], v[60:61], v[12:13], v[92:93]
	;; [unrolled: 1-line block ×5, first 2 shown]
	v_fma_f64 v[16:17], v[66:67], v[16:17], -v[18:19]
	v_fma_f64 v[8:9], v[58:59], v[8:9], -v[10:11]
	;; [unrolled: 1-line block ×3, first 2 shown]
	v_mul_f64 v[12:13], v[82:83], v[46:47]
	v_mul_f64 v[14:15], v[80:81], v[46:47]
	v_fma_f64 v[6:7], v[70:71], v[20:21], -v[6:7]
	v_fma_f64 v[18:19], v[74:75], v[40:41], -v[22:23]
	v_mul_f64 v[20:21], v[86:87], v[50:51]
	v_mul_f64 v[22:23], v[84:85], v[50:51]
	v_add_f64 v[40:41], v[52:53], v[56:57]
	v_add_f64 v[58:59], v[42:43], v[54:55]
	;; [unrolled: 1-line block ×4, first 2 shown]
	v_add_f64 v[52:53], v[52:53], -v[56:57]
	v_add_f64 v[56:57], v[60:61], -v[64:65]
	;; [unrolled: 1-line block ×3, first 2 shown]
	v_add_f64 v[66:67], v[8:9], v[10:11]
	v_fma_f64 v[12:13], v[80:81], v[44:45], v[12:13]
	v_fma_f64 v[14:15], v[82:83], v[44:45], -v[14:15]
	v_add_f64 v[42:43], v[42:43], -v[54:55]
	v_add_f64 v[8:9], v[8:9], -v[10:11]
	v_add_f64 v[62:63], v[6:7], v[18:19]
	v_add_f64 v[16:17], v[6:7], -v[18:19]
	v_fma_f64 v[20:21], v[84:85], v[48:49], v[20:21]
	v_fma_f64 v[22:23], v[86:87], v[48:49], -v[22:23]
	v_fma_f64 v[10:11], v[40:41], s[16:17], v[76:77]
	v_fma_f64 v[44:45], v[46:47], s[16:17], v[76:77]
	;; [unrolled: 1-line block ×4, first 2 shown]
	v_mul_f64 v[70:71], v[52:53], s[20:21]
	v_mul_f64 v[72:73], v[56:57], s[22:23]
	;; [unrolled: 1-line block ×3, first 2 shown]
	s_mov_b32 s21, 0xbfe491b7
	v_fma_f64 v[82:83], v[66:67], s[16:17], v[78:79]
	v_mul_f64 v[86:87], v[56:57], s[20:21]
	v_add_f64 v[92:93], v[58:59], v[40:41]
	v_add_f64 v[94:95], v[66:67], v[50:51]
	;; [unrolled: 1-line block ×3, first 2 shown]
	v_fma_f64 v[68:69], v[62:63], s[16:17], v[78:79]
	v_mul_f64 v[80:81], v[16:17], s[22:23]
	v_mul_f64 v[84:85], v[16:17], s[20:21]
	v_add_f64 v[88:89], v[12:13], v[20:21]
	v_add_f64 v[90:91], v[14:15], v[22:23]
	s_mov_b32 s16, 0x7e0b738b
	s_mov_b32 s17, 0x3fc63a1a
	v_add_f64 v[12:13], v[12:13], -v[20:21]
	v_add_f64 v[14:15], v[14:15], -v[22:23]
	v_fma_f64 v[10:11], v[58:59], s[16:17], v[10:11]
	v_fma_f64 v[20:21], v[66:67], s[16:17], v[48:49]
	;; [unrolled: 1-line block ×8, first 2 shown]
	v_add_f64 v[98:99], v[16:17], v[4:5]
	v_add_f64 v[100:101], v[46:47], v[92:93]
	v_add_f64 v[102:103], v[62:63], v[94:95]
	v_fma_f64 v[44:45], v[50:51], s[16:17], v[68:69]
	v_fma_f64 v[68:69], v[42:43], s[20:21], -v[72:73]
	v_fma_f64 v[72:73], v[8:9], s[20:21], -v[80:81]
	v_fma_f64 v[80:81], v[4:5], s[22:23], v[84:85]
	v_add_f64 v[84:85], v[76:77], v[88:89]
	v_add_f64 v[92:93], v[88:89], v[92:93]
	;; [unrolled: 1-line block ×4, first 2 shown]
	s_mov_b32 s16, s24
	s_mov_b32 s17, s15
	v_fma_f64 v[10:11], v[88:89], -0.5, v[10:11]
	v_fma_f64 v[22:23], v[88:89], -0.5, v[22:23]
	v_fma_f64 v[48:49], v[12:13], s[24:25], v[48:49]
	v_fma_f64 v[70:71], v[14:15], s[24:25], v[70:71]
	v_fma_f64 v[54:55], v[88:89], -0.5, v[54:55]
	v_fma_f64 v[74:75], v[90:91], -0.5, v[74:75]
	;; [unrolled: 1-line block ×3, first 2 shown]
	s_mov_b32 s20, 0x42522d1b
	s_mov_b32 s22, 0x748a0bf8
	s_mov_b32 s21, 0xbfee11f6
	s_mov_b32 s23, 0x3fd5e3a8
	v_fma_f64 v[44:45], v[90:91], -0.5, v[44:45]
	v_fma_f64 v[68:69], v[12:13], s[24:25], v[68:69]
	v_fma_f64 v[72:73], v[14:15], s[24:25], v[72:73]
	;; [unrolled: 1-line block ×4, first 2 shown]
	v_add_f64 v[82:83], v[98:99], -v[8:9]
	v_fma_f64 v[84:85], v[100:101], -0.5, v[84:85]
	v_add_f64 v[60:61], v[60:61], v[92:93]
	v_add_f64 v[6:7], v[6:7], v[94:95]
	v_add_f64 v[80:81], v[96:97], -v[42:43]
	v_fma_f64 v[86:87], v[102:103], -0.5, v[86:87]
	v_fma_f64 v[10:11], v[46:47], s[20:21], v[10:11]
	v_fma_f64 v[22:23], v[58:59], s[20:21], v[22:23]
	;; [unrolled: 1-line block ×7, first 2 shown]
	v_add_nc_u32_e32 v75, 54, v38
	v_add_nc_u32_e32 v99, 36, v38
	;; [unrolled: 1-line block ×3, first 2 shown]
	v_fma_f64 v[44:45], v[66:67], s[20:21], v[44:45]
	v_fma_f64 v[52:53], v[52:53], s[22:23], v[68:69]
	;; [unrolled: 1-line block ×5, first 2 shown]
	v_mul_f64 v[42:43], v[82:83], s[24:25]
	v_fma_f64 v[4:5], v[82:83], s[16:17], v[84:85]
	v_add_f64 v[60:61], v[64:65], v[60:61]
	v_add_f64 v[64:65], v[18:19], v[6:7]
	v_mul_f64 v[49:50], v[80:81], s[24:25]
	v_fma_f64 v[6:7], v[80:81], s[24:25], v[86:87]
	s_load_dwordx2 s[16:17], s[4:5], 0x8
	v_mul_lo_u32 v97, v37, v75
	v_add_f64 v[8:9], v[10:11], -v[56:57]
	v_add_f64 v[10:11], v[47:48], v[20:21]
	v_bfe_u32 v98, v97, 8, 8
	v_add_f64 v[14:15], v[52:53], v[40:41]
	v_add_f64 v[12:13], v[16:17], -v[58:59]
	v_add_f64 v[16:17], v[22:23], -v[54:55]
	v_add_f64 v[18:19], v[62:63], v[44:45]
	v_mov_b32_e32 v40, 4
	v_fma_f64 v[20:21], v[42:43], 2.0, v[4:5]
	v_add_f64 v[41:42], v[76:77], v[60:61]
	v_add_f64 v[43:44], v[78:79], v[64:65]
	v_fma_f64 v[22:23], v[49:50], -2.0, v[6:7]
	v_lshlrev_b32_sdwa v3, v40, v3 dst_sel:DWORD dst_unused:UNUSED_PAD src0_sel:DWORD src1_sel:BYTE_0
	v_fma_f64 v[45:46], v[56:57], 2.0, v[8:9]
	v_add3_u32 v0, v2, v3, v0
	v_fma_f64 v[47:48], v[47:48], -2.0, v[10:11]
	v_fma_f64 v[51:52], v[52:53], -2.0, v[14:15]
	v_fma_f64 v[49:50], v[58:59], 2.0, v[12:13]
	v_fma_f64 v[53:54], v[54:55], 2.0, v[16:17]
	v_fma_f64 v[55:56], v[62:63], -2.0, v[18:19]
	ds_write_b128 v0, v[4:7] offset:144
	ds_write_b128 v0, v[41:44]
	ds_write_b128 v0, v[8:11] offset:48
	ds_write_b128 v0, v[12:15] offset:192
	;; [unrolled: 1-line block ×7, first 2 shown]
	v_add_nc_u32_e32 v42, 9, v38
	s_waitcnt lgkmcnt(0)
	s_barrier
	buffer_gl0_inv
	global_load_dwordx4 v[4:7], v1, s[10:11] offset:384
	v_lshlrev_b32_e32 v12, 5, v42
	v_add_nc_u32_e32 v41, 18, v38
	v_mul_lo_u32 v43, v37, v38
	v_add_nc_u32_e32 v59, 27, v38
	v_mul_lo_u32 v42, v37, v42
	s_clause 0x2
	global_load_dwordx4 v[8:11], v12, s[10:11] offset:384
	global_load_dwordx4 v[0:3], v1, s[10:11] offset:400
	;; [unrolled: 1-line block ×3, first 2 shown]
	v_lshlrev_b32_e32 v20, 5, v41
	v_mul_lo_u32 v71, v37, v59
	v_bfe_u32 v44, v43, 8, 8
	v_lshlrev_b32_sdwa v43, v40, v43 dst_sel:DWORD dst_unused:UNUSED_PAD src0_sel:DWORD src1_sel:BYTE_0
	v_mul_lo_u32 v41, v37, v41
	s_clause 0x1
	global_load_dwordx4 v[12:15], v20, s[10:11] offset:384
	global_load_dwordx4 v[20:23], v20, s[10:11] offset:400
	v_lshl_or_b32 v47, v44, 4, 0x1000
	s_clause 0x1
	global_load_dwordx4 v[43:46], v43, s[16:17]
	global_load_dwordx4 v[47:50], v47, s[16:17]
	ds_read_b128 v[51:54], v36 offset:432
	ds_read_b128 v[55:58], v36 offset:864
	;; [unrolled: 1-line block ×5, first 2 shown]
	v_bfe_u32 v72, v71, 8, 8
	v_lshlrev_b32_sdwa v76, v40, v71 dst_sel:DWORD dst_unused:UNUSED_PAD src0_sel:DWORD src1_sel:BYTE_0
	v_lshl_or_b32 v79, v72, 4, 0x1000
	ds_read_b128 v[71:74], v36 offset:720
	s_clause 0x1
	global_load_dwordx4 v[75:78], v76, s[16:17]
	global_load_dwordx4 v[79:82], v79, s[16:17]
	ds_read_b128 v[83:86], v36 offset:1152
	s_waitcnt vmcnt(9) lgkmcnt(6)
	v_mul_f64 v[87:88], v[53:54], v[6:7]
	v_mul_f64 v[6:7], v[51:52], v[6:7]
	s_waitcnt vmcnt(8) lgkmcnt(4)
	v_mul_f64 v[91:92], v[61:62], v[10:11]
	s_waitcnt vmcnt(7)
	v_mul_f64 v[89:90], v[57:58], v[2:3]
	v_mul_f64 v[2:3], v[55:56], v[2:3]
	;; [unrolled: 1-line block ×3, first 2 shown]
	s_waitcnt vmcnt(6) lgkmcnt(3)
	v_mul_f64 v[93:94], v[65:66], v[18:19]
	v_mul_f64 v[18:19], v[63:64], v[18:19]
	v_fma_f64 v[87:88], v[51:52], v[4:5], v[87:88]
	v_fma_f64 v[95:96], v[53:54], v[4:5], -v[6:7]
	v_lshlrev_b32_sdwa v4, v40, v97 dst_sel:DWORD dst_unused:UNUSED_PAD src0_sel:DWORD src1_sel:BYTE_0
	s_waitcnt vmcnt(5) lgkmcnt(1)
	v_mul_f64 v[51:52], v[73:74], v[14:15]
	v_mul_f64 v[53:54], v[71:72], v[14:15]
	v_lshl_or_b32 v5, v98, 4, 0x1000
	v_fma_f64 v[91:92], v[59:60], v[8:9], v[91:92]
	v_fma_f64 v[89:90], v[55:56], v[0:1], v[89:90]
	v_fma_f64 v[97:98], v[57:58], v[0:1], -v[2:3]
	s_clause 0x1
	global_load_dwordx4 v[0:3], v4, s[16:17]
	global_load_dwordx4 v[4:7], v5, s[16:17]
	s_waitcnt vmcnt(6) lgkmcnt(0)
	v_mul_f64 v[57:58], v[85:86], v[22:23]
	v_mul_f64 v[22:23], v[83:84], v[22:23]
	v_mul_lo_u32 v55, v37, v99
	v_mul_lo_u32 v59, v37, v100
	v_bfe_u32 v14, v42, 8, 8
	v_fma_f64 v[61:62], v[61:62], v[8:9], -v[10:11]
	v_lshlrev_b32_sdwa v8, v40, v42 dst_sel:DWORD dst_unused:UNUSED_PAD src0_sel:DWORD src1_sel:BYTE_0
	v_fma_f64 v[65:66], v[65:66], v[16:17], -v[18:19]
	v_fma_f64 v[63:64], v[63:64], v[16:17], v[93:94]
	v_lshl_or_b32 v14, v14, 4, 0x1000
	v_bfe_u32 v42, v55, 8, 8
	v_bfe_u32 v19, v59, 8, 8
	v_lshlrev_b32_sdwa v18, v40, v55 dst_sel:DWORD dst_unused:UNUSED_PAD src0_sel:DWORD src1_sel:BYTE_0
	s_clause 0x1
	global_load_dwordx4 v[8:11], v8, s[16:17]
	global_load_dwordx4 v[14:17], v14, s[16:17]
	s_waitcnt vmcnt(6)
	v_mul_f64 v[93:94], v[45:46], v[49:50]
	v_fma_f64 v[71:72], v[71:72], v[12:13], v[51:52]
	v_fma_f64 v[73:74], v[73:74], v[12:13], -v[53:54]
	v_lshlrev_b32_sdwa v12, v40, v59 dst_sel:DWORD dst_unused:UNUSED_PAD src0_sel:DWORD src1_sel:BYTE_0
	v_lshl_or_b32 v42, v42, 4, 0x1000
	v_lshl_or_b32 v13, v19, 4, 0x1000
	v_mul_f64 v[99:100], v[43:44], v[49:50]
	s_clause 0x1
	global_load_dwordx4 v[49:52], v18, s[16:17]
	global_load_dwordx4 v[53:56], v42, s[16:17]
	v_fma_f64 v[83:84], v[83:84], v[20:21], v[57:58]
	v_fma_f64 v[22:23], v[85:86], v[20:21], -v[22:23]
	s_clause 0x1
	global_load_dwordx4 v[18:21], v12, s[16:17]
	global_load_dwordx4 v[57:60], v13, s[16:17]
	v_bfe_u32 v12, v41, 8, 8
	v_lshlrev_b32_sdwa v13, v40, v41 dst_sel:DWORD dst_unused:UNUSED_PAD src0_sel:DWORD src1_sel:BYTE_0
	v_lshl_or_b32 v12, v12, 4, 0x1000
	v_fma_f64 v[85:86], v[43:44], v[47:48], -v[93:94]
	v_add_f64 v[107:108], v[67:68], v[71:72]
	v_add_f64 v[105:106], v[69:70], v[73:74]
	v_fma_f64 v[93:94], v[45:46], v[47:48], v[99:100]
	s_clause 0x1
	global_load_dwordx4 v[41:44], v13, s[16:17]
	global_load_dwordx4 v[45:48], v12, s[16:17]
	s_waitcnt vmcnt(10)
	v_mul_f64 v[12:13], v[77:78], v[81:82]
	v_mul_f64 v[81:82], v[75:76], v[81:82]
	v_fma_f64 v[75:76], v[75:76], v[79:80], -v[12:13]
	v_fma_f64 v[77:78], v[77:78], v[79:80], v[81:82]
	s_waitcnt vmcnt(8)
	v_mul_f64 v[99:100], v[2:3], v[6:7]
	v_mul_f64 v[6:7], v[0:1], v[6:7]
	s_waitcnt vmcnt(6)
	v_mul_f64 v[12:13], v[10:11], v[16:17]
	v_mul_f64 v[16:17], v[8:9], v[16:17]
	v_fma_f64 v[81:82], v[0:1], v[4:5], -v[99:100]
	s_waitcnt vmcnt(4)
	v_mul_f64 v[79:80], v[51:52], v[55:56]
	v_fma_f64 v[99:100], v[2:3], v[4:5], v[6:7]
	v_mul_f64 v[4:5], v[49:50], v[55:56]
	s_waitcnt vmcnt(2)
	v_mul_f64 v[55:56], v[20:21], v[59:60]
	v_mul_f64 v[59:60], v[18:19], v[59:60]
	v_add_nc_u32_e32 v6, 45, v38
	v_add_nc_u32_e32 v7, 0x48, v38
	ds_read_b128 v[0:3], v39
	v_fma_f64 v[101:102], v[8:9], v[14:15], -v[12:13]
	v_fma_f64 v[16:17], v[10:11], v[14:15], v[16:17]
	v_mul_lo_u32 v12, v37, v6
	v_mul_lo_u32 v13, v37, v7
	s_waitcnt vmcnt(0)
	v_mul_f64 v[8:9], v[43:44], v[47:48]
	v_mul_f64 v[10:11], v[41:42], v[47:48]
	v_fma_f64 v[37:38], v[49:50], v[53:54], -v[79:80]
	v_fma_f64 v[47:48], v[51:52], v[53:54], v[4:5]
	ds_read_b128 v[4:7], v36 offset:144
	v_add_f64 v[49:50], v[87:88], v[89:90]
	v_add_f64 v[51:52], v[95:96], v[97:98]
	v_fma_f64 v[53:54], v[18:19], v[57:58], -v[55:56]
	v_fma_f64 v[18:19], v[20:21], v[57:58], v[59:60]
	v_add_f64 v[20:21], v[91:92], v[63:64]
	v_add_f64 v[55:56], v[61:62], v[65:66]
	v_bfe_u32 v14, v12, 8, 8
	v_bfe_u32 v15, v13, 8, 8
	v_lshlrev_b32_sdwa v12, v40, v12 dst_sel:DWORD dst_unused:UNUSED_PAD src0_sel:DWORD src1_sel:BYTE_0
	v_lshlrev_b32_sdwa v109, v40, v13 dst_sel:DWORD dst_unused:UNUSED_PAD src0_sel:DWORD src1_sel:BYTE_0
	s_waitcnt lgkmcnt(1)
	v_add_f64 v[57:58], v[2:3], v[95:96]
	v_lshl_or_b32 v13, v14, 4, 0x1000
	v_lshl_or_b32 v110, v15, 4, 0x1000
	v_add_f64 v[59:60], v[73:74], v[22:23]
	v_add_f64 v[79:80], v[71:72], v[83:84]
	v_add_f64 v[95:96], v[95:96], -v[97:98]
	v_add_f64 v[71:72], v[71:72], -v[83:84]
	v_fma_f64 v[39:40], v[41:42], v[45:46], -v[8:9]
	v_fma_f64 v[41:42], v[43:44], v[45:46], v[10:11]
	s_clause 0x1
	global_load_dwordx4 v[8:11], v12, s[16:17]
	global_load_dwordx4 v[12:15], v13, s[16:17]
	v_add_f64 v[43:44], v[0:1], v[87:88]
	s_waitcnt lgkmcnt(0)
	v_add_f64 v[103:104], v[4:5], v[91:92]
	v_fma_f64 v[45:46], v[49:50], -0.5, v[0:1]
	v_fma_f64 v[49:50], v[51:52], -0.5, v[2:3]
	v_add_f64 v[51:52], v[6:7], v[61:62]
	v_add_f64 v[61:62], v[61:62], -v[65:66]
	v_fma_f64 v[20:21], v[20:21], -0.5, v[4:5]
	v_fma_f64 v[55:56], v[55:56], -0.5, v[6:7]
	s_clause 0x1
	global_load_dwordx4 v[0:3], v109, s[16:17]
	global_load_dwordx4 v[4:7], v110, s[16:17]
	v_add_f64 v[73:74], v[73:74], -v[22:23]
	v_add_f64 v[22:23], v[105:106], v[22:23]
	v_add_f64 v[83:84], v[107:108], v[83:84]
	;; [unrolled: 1-line block ×3, first 2 shown]
	s_waitcnt vmcnt(0)
	s_barrier
	v_fma_f64 v[59:60], v[59:60], -0.5, v[69:70]
	v_add_f64 v[69:70], v[87:88], -v[89:90]
	v_fma_f64 v[67:68], v[79:80], -0.5, v[67:68]
	v_add_f64 v[79:80], v[91:92], -v[63:64]
	buffer_gl0_inv
	v_add_f64 v[43:44], v[43:44], v[89:90]
	v_add_f64 v[63:64], v[103:104], v[63:64]
	;; [unrolled: 1-line block ×3, first 2 shown]
	v_fma_f64 v[91:92], v[61:62], s[14:15], v[20:21]
	v_fma_f64 v[20:21], v[61:62], s[12:13], v[20:21]
	;; [unrolled: 1-line block ×11, first 2 shown]
	v_mul_f64 v[97:98], v[20:21], v[18:19]
	v_mul_f64 v[95:96], v[55:56], v[18:19]
	v_fma_f64 v[20:21], v[20:21], v[53:54], v[95:96]
	v_mul_f64 v[87:88], v[8:9], v[14:15]
	v_mul_f64 v[14:15], v[10:11], v[14:15]
	;; [unrolled: 1-line block ×4, first 2 shown]
	v_fma_f64 v[10:11], v[10:11], v[12:13], v[87:88]
	v_mul_f64 v[87:88], v[45:46], v[99:100]
	v_fma_f64 v[2:3], v[2:3], v[4:5], v[65:66]
	v_fma_f64 v[65:66], v[73:74], s[12:13], v[67:68]
	v_fma_f64 v[73:74], v[0:1], v[4:5], -v[6:7]
	v_mul_f64 v[0:1], v[57:58], v[93:94]
	v_mul_f64 v[4:5], v[43:44], v[93:94]
	v_fma_f64 v[67:68], v[8:9], v[12:13], -v[14:15]
	v_mul_f64 v[6:7], v[51:52], v[16:17]
	v_mul_f64 v[8:9], v[63:64], v[16:17]
	;; [unrolled: 1-line block ×11, first 2 shown]
	v_fma_f64 v[18:19], v[49:50], v[81:82], -v[87:88]
	v_mul_f64 v[105:106], v[59:60], v[2:3]
	v_mul_f64 v[107:108], v[65:66], v[2:3]
	v_fma_f64 v[0:1], v[43:44], v[85:86], v[0:1]
	v_fma_f64 v[2:3], v[57:58], v[85:86], -v[4:5]
	v_fma_f64 v[4:5], v[63:64], v[101:102], v[6:7]
	v_fma_f64 v[6:7], v[51:52], v[101:102], -v[8:9]
	v_fma_f64 v[8:9], v[83:84], v[39:40], v[12:13]
	v_fma_f64 v[10:11], v[22:23], v[39:40], -v[14:15]
	v_fma_f64 v[12:13], v[69:70], v[75:76], v[16:17]
	v_fma_f64 v[14:15], v[89:90], v[75:76], -v[41:42]
	v_fma_f64 v[16:17], v[45:46], v[81:82], v[77:78]
	v_fma_f64 v[22:23], v[91:92], v[37:38], v[93:94]
	v_fma_f64 v[37:38], v[61:62], v[37:38], -v[47:48]
	v_fma_f64 v[39:40], v[55:56], v[53:54], -v[97:98]
	v_fma_f64 v[41:42], v[71:72], v[67:68], v[99:100]
	v_fma_f64 v[43:44], v[79:80], v[67:68], -v[103:104]
	v_fma_f64 v[45:46], v[65:66], v[73:74], v[105:106]
	v_fma_f64 v[47:48], v[59:60], v[73:74], -v[107:108]
	ds_write_b128 v36, v[0:3]
	ds_write_b128 v36, v[4:7] offset:144
	ds_write_b128 v36, v[12:15] offset:432
	;; [unrolled: 1-line block ×3, first 2 shown]
	ds_write2_b64 v36, v[22:23], v[37:38] offset0:72 offset1:73
	ds_write2_b64 v36, v[20:21], v[39:40] offset0:126 offset1:127
	ds_write_b128 v36, v[8:11] offset:288
	ds_write2_b64 v36, v[41:42], v[43:44] offset0:90 offset1:91
	ds_write2_b64 v36, v[45:46], v[47:48] offset0:144 offset1:145
	s_waitcnt lgkmcnt(0)
	s_barrier
	buffer_gl0_inv
	s_and_saveexec_b32 s10, s19
	s_cbranch_execz .LBB0_6
; %bb.5:
	v_mad_u64_u32 v[4:5], null, s0, v33, 0
	v_mad_u64_u32 v[6:7], null, s6, v32, 0
	s_load_dwordx2 s[4:5], s[4:5], 0x60
	s_mul_i32 s10, s0, s18
	s_mul_hi_u32 s11, s0, s9
	v_mad_u64_u32 v[8:9], null, s6, v31, 0
	v_mov_b32_e32 v0, v5
	v_mov_b32_e32 v1, v7
	s_add_i32 s10, s11, s10
	s_mul_i32 s11, s1, s9
	v_mad_u64_u32 v[14:15], null, s6, v29, 0
	v_mad_u64_u32 v[2:3], null, s1, v33, v[0:1]
	s_add_i32 s11, s10, s11
	s_mul_i32 s10, s0, s9
	s_mul_i32 s0, s3, s8
	s_mul_hi_u32 s3, s2, s8
	v_mad_u64_u32 v[9:10], null, s7, v31, v[9:10]
	v_mad_u64_u32 v[0:1], null, s7, v32, v[1:2]
	v_add3_u32 v32, 0, v35, v34
	v_mov_b32_e32 v5, v2
	s_add_i32 s1, s3, s0
	s_mul_i32 s0, s2, s8
	v_mad_u64_u32 v[10:11], null, s6, v30, 0
	v_mov_b32_e32 v7, v0
	ds_read_b128 v[0:3], v32
	s_lshl_b64 s[0:1], s[0:1], 4
	v_lshlrev_b64 v[4:5], 4, v[4:5]
	s_waitcnt lgkmcnt(0)
	s_add_u32 s2, s4, s0
	s_addc_u32 s3, s5, s1
	s_lshl_b64 s[0:1], s[10:11], 4
	v_lshlrev_b64 v[12:13], 4, v[6:7]
	s_add_u32 s0, s2, s0
	s_addc_u32 s1, s3, s1
	v_add_co_u32 v31, vcc_lo, s0, v4
	v_add_co_ci_u32_e32 v33, vcc_lo, s1, v5, vcc_lo
	ds_read_b128 v[4:7], v32 offset:144
	v_add_co_u32 v12, vcc_lo, v31, v12
	v_lshlrev_b64 v[8:9], 4, v[8:9]
	v_add_co_ci_u32_e32 v13, vcc_lo, v33, v13, vcc_lo
	v_mad_u64_u32 v[16:17], null, s7, v30, v[11:12]
	global_store_dwordx4 v[12:13], v[0:3], off
	v_mov_b32_e32 v0, v15
	v_add_co_u32 v1, vcc_lo, v31, v8
	v_add_co_ci_u32_e32 v2, vcc_lo, v33, v9, vcc_lo
	v_mad_u64_u32 v[12:13], null, s6, v28, 0
	v_mad_u64_u32 v[8:9], null, s7, v29, v[0:1]
	v_mov_b32_e32 v11, v16
	s_waitcnt lgkmcnt(0)
	global_store_dwordx4 v[1:2], v[4:7], off
	ds_read_b128 v[0:3], v32 offset:288
	ds_read_b128 v[4:7], v32 offset:432
	v_lshlrev_b64 v[9:10], 4, v[10:11]
	v_mov_b32_e32 v15, v8
	v_mov_b32_e32 v8, v13
	v_lshlrev_b64 v[13:14], 4, v[14:15]
	v_mad_u64_u32 v[18:19], null, s7, v28, v[8:9]
	v_add_co_u32 v16, vcc_lo, v31, v9
	v_mad_u64_u32 v[19:20], null, s6, v27, 0
	v_add_co_ci_u32_e32 v17, vcc_lo, v33, v10, vcc_lo
	v_add_co_u32 v21, vcc_lo, v31, v13
	v_mov_b32_e32 v13, v18
	ds_read_b128 v[8:11], v32 offset:576
	s_waitcnt lgkmcnt(2)
	global_store_dwordx4 v[16:17], v[0:3], off
	v_add_co_ci_u32_e32 v22, vcc_lo, v33, v14, vcc_lo
	v_lshlrev_b64 v[1:2], 4, v[12:13]
	v_mov_b32_e32 v0, v20
	v_mad_u64_u32 v[14:15], null, s6, v26, 0
	s_waitcnt lgkmcnt(1)
	global_store_dwordx4 v[21:22], v[4:7], off
	v_mad_u64_u32 v[16:17], null, s6, v24, 0
	v_mad_u64_u32 v[4:5], null, s7, v27, v[0:1]
	;; [unrolled: 1-line block ×3, first 2 shown]
	v_add_co_u32 v12, vcc_lo, v31, v1
	v_add_co_ci_u32_e32 v13, vcc_lo, v33, v2, vcc_lo
	ds_read_b128 v[0:3], v32 offset:720
	v_mov_b32_e32 v20, v4
	v_mov_b32_e32 v4, v6
	s_waitcnt lgkmcnt(1)
	global_store_dwordx4 v[12:13], v[8:11], off
	v_mov_b32_e32 v6, v15
	v_lshlrev_b64 v[7:8], 4, v[19:20]
	v_mad_u64_u32 v[9:10], null, s7, v25, v[4:5]
	v_mov_b32_e32 v4, v17
	v_mad_u64_u32 v[10:11], null, s7, v26, v[6:7]
	v_mad_u64_u32 v[20:21], null, s7, v24, v[4:5]
	v_mov_b32_e32 v6, v9
	v_add_co_u32 v18, vcc_lo, v31, v7
	v_add_co_ci_u32_e32 v19, vcc_lo, v33, v8, vcc_lo
	v_mov_b32_e32 v15, v10
	v_lshlrev_b64 v[21:22], 4, v[5:6]
	ds_read_b128 v[4:7], v32 offset:864
	ds_read_b128 v[8:11], v32 offset:1008
	v_mov_b32_e32 v17, v20
	v_lshlrev_b64 v[23:24], 4, v[14:15]
	ds_read_b128 v[12:15], v32 offset:1152
	v_add_co_u32 v20, vcc_lo, v31, v21
	v_lshlrev_b64 v[16:17], 4, v[16:17]
	v_add_co_ci_u32_e32 v21, vcc_lo, v33, v22, vcc_lo
	v_add_co_u32 v22, vcc_lo, v31, v23
	v_add_co_ci_u32_e32 v23, vcc_lo, v33, v24, vcc_lo
	v_add_co_u32 v16, vcc_lo, v31, v16
	v_add_co_ci_u32_e32 v17, vcc_lo, v33, v17, vcc_lo
	s_waitcnt lgkmcnt(3)
	global_store_dwordx4 v[18:19], v[0:3], off
	s_waitcnt lgkmcnt(2)
	global_store_dwordx4 v[20:21], v[4:7], off
	;; [unrolled: 2-line block ×4, first 2 shown]
.LBB0_6:
	s_endpgm
	.section	.rodata,"a",@progbits
	.p2align	6, 0x0
	.amdhsa_kernel fft_rtc_back_len81_factors_3_9_3_wgs_189_tpt_9_dim2_dp_op_CI_CI_sbcc_twdbase8_2step
		.amdhsa_group_segment_fixed_size 0
		.amdhsa_private_segment_fixed_size 0
		.amdhsa_kernarg_size 104
		.amdhsa_user_sgpr_count 6
		.amdhsa_user_sgpr_private_segment_buffer 1
		.amdhsa_user_sgpr_dispatch_ptr 0
		.amdhsa_user_sgpr_queue_ptr 0
		.amdhsa_user_sgpr_kernarg_segment_ptr 1
		.amdhsa_user_sgpr_dispatch_id 0
		.amdhsa_user_sgpr_flat_scratch_init 0
		.amdhsa_user_sgpr_private_segment_size 0
		.amdhsa_wavefront_size32 1
		.amdhsa_uses_dynamic_stack 0
		.amdhsa_system_sgpr_private_segment_wavefront_offset 0
		.amdhsa_system_sgpr_workgroup_id_x 1
		.amdhsa_system_sgpr_workgroup_id_y 0
		.amdhsa_system_sgpr_workgroup_id_z 0
		.amdhsa_system_sgpr_workgroup_info 0
		.amdhsa_system_vgpr_workitem_id 0
		.amdhsa_next_free_vgpr 111
		.amdhsa_next_free_sgpr 26
		.amdhsa_reserve_vcc 1
		.amdhsa_reserve_flat_scratch 0
		.amdhsa_float_round_mode_32 0
		.amdhsa_float_round_mode_16_64 0
		.amdhsa_float_denorm_mode_32 3
		.amdhsa_float_denorm_mode_16_64 3
		.amdhsa_dx10_clamp 1
		.amdhsa_ieee_mode 1
		.amdhsa_fp16_overflow 0
		.amdhsa_workgroup_processor_mode 1
		.amdhsa_memory_ordered 1
		.amdhsa_forward_progress 0
		.amdhsa_shared_vgpr_count 0
		.amdhsa_exception_fp_ieee_invalid_op 0
		.amdhsa_exception_fp_denorm_src 0
		.amdhsa_exception_fp_ieee_div_zero 0
		.amdhsa_exception_fp_ieee_overflow 0
		.amdhsa_exception_fp_ieee_underflow 0
		.amdhsa_exception_fp_ieee_inexact 0
		.amdhsa_exception_int_div_zero 0
	.end_amdhsa_kernel
	.text
.Lfunc_end0:
	.size	fft_rtc_back_len81_factors_3_9_3_wgs_189_tpt_9_dim2_dp_op_CI_CI_sbcc_twdbase8_2step, .Lfunc_end0-fft_rtc_back_len81_factors_3_9_3_wgs_189_tpt_9_dim2_dp_op_CI_CI_sbcc_twdbase8_2step
                                        ; -- End function
	.section	.AMDGPU.csdata,"",@progbits
; Kernel info:
; codeLenInByte = 6536
; NumSgprs: 28
; NumVgprs: 111
; ScratchSize: 0
; MemoryBound: 0
; FloatMode: 240
; IeeeMode: 1
; LDSByteSize: 0 bytes/workgroup (compile time only)
; SGPRBlocks: 3
; VGPRBlocks: 13
; NumSGPRsForWavesPerEU: 28
; NumVGPRsForWavesPerEU: 111
; Occupancy: 9
; WaveLimiterHint : 1
; COMPUTE_PGM_RSRC2:SCRATCH_EN: 0
; COMPUTE_PGM_RSRC2:USER_SGPR: 6
; COMPUTE_PGM_RSRC2:TRAP_HANDLER: 0
; COMPUTE_PGM_RSRC2:TGID_X_EN: 1
; COMPUTE_PGM_RSRC2:TGID_Y_EN: 0
; COMPUTE_PGM_RSRC2:TGID_Z_EN: 0
; COMPUTE_PGM_RSRC2:TIDIG_COMP_CNT: 0
	.text
	.p2alignl 6, 3214868480
	.fill 48, 4, 3214868480
	.type	__hip_cuid_b95559f34b72cfb4,@object ; @__hip_cuid_b95559f34b72cfb4
	.section	.bss,"aw",@nobits
	.globl	__hip_cuid_b95559f34b72cfb4
__hip_cuid_b95559f34b72cfb4:
	.byte	0                               ; 0x0
	.size	__hip_cuid_b95559f34b72cfb4, 1

	.ident	"AMD clang version 19.0.0git (https://github.com/RadeonOpenCompute/llvm-project roc-6.4.0 25133 c7fe45cf4b819c5991fe208aaa96edf142730f1d)"
	.section	".note.GNU-stack","",@progbits
	.addrsig
	.addrsig_sym __hip_cuid_b95559f34b72cfb4
	.amdgpu_metadata
---
amdhsa.kernels:
  - .args:
      - .actual_access:  read_only
        .address_space:  global
        .offset:         0
        .size:           8
        .value_kind:     global_buffer
      - .address_space:  global
        .offset:         8
        .size:           8
        .value_kind:     global_buffer
      - .actual_access:  read_only
        .address_space:  global
        .offset:         16
        .size:           8
        .value_kind:     global_buffer
      - .actual_access:  read_only
        .address_space:  global
        .offset:         24
        .size:           8
        .value_kind:     global_buffer
      - .actual_access:  read_only
        .address_space:  global
        .offset:         32
        .size:           8
        .value_kind:     global_buffer
      - .offset:         40
        .size:           8
        .value_kind:     by_value
      - .actual_access:  read_only
        .address_space:  global
        .offset:         48
        .size:           8
        .value_kind:     global_buffer
      - .actual_access:  read_only
        .address_space:  global
        .offset:         56
        .size:           8
        .value_kind:     global_buffer
      - .offset:         64
        .size:           4
        .value_kind:     by_value
      - .actual_access:  read_only
        .address_space:  global
        .offset:         72
        .size:           8
        .value_kind:     global_buffer
      - .actual_access:  read_only
        .address_space:  global
        .offset:         80
        .size:           8
        .value_kind:     global_buffer
      - .actual_access:  read_only
        .address_space:  global
        .offset:         88
        .size:           8
        .value_kind:     global_buffer
      - .actual_access:  write_only
        .address_space:  global
        .offset:         96
        .size:           8
        .value_kind:     global_buffer
    .group_segment_fixed_size: 0
    .kernarg_segment_align: 8
    .kernarg_segment_size: 104
    .language:       OpenCL C
    .language_version:
      - 2
      - 0
    .max_flat_workgroup_size: 189
    .name:           fft_rtc_back_len81_factors_3_9_3_wgs_189_tpt_9_dim2_dp_op_CI_CI_sbcc_twdbase8_2step
    .private_segment_fixed_size: 0
    .sgpr_count:     28
    .sgpr_spill_count: 0
    .symbol:         fft_rtc_back_len81_factors_3_9_3_wgs_189_tpt_9_dim2_dp_op_CI_CI_sbcc_twdbase8_2step.kd
    .uniform_work_group_size: 1
    .uses_dynamic_stack: false
    .vgpr_count:     111
    .vgpr_spill_count: 0
    .wavefront_size: 32
    .workgroup_processor_mode: 1
amdhsa.target:   amdgcn-amd-amdhsa--gfx1030
amdhsa.version:
  - 1
  - 2
...

	.end_amdgpu_metadata
